;; amdgpu-corpus repo=ROCm/rocFFT kind=compiled arch=gfx906 opt=O3
	.text
	.amdgcn_target "amdgcn-amd-amdhsa--gfx906"
	.amdhsa_code_object_version 6
	.protected	fft_rtc_back_len3888_factors_16_3_3_3_3_3_wgs_324_tpt_324_halfLds_dp_ip_CI_unitstride_sbrr_R2C_dirReg ; -- Begin function fft_rtc_back_len3888_factors_16_3_3_3_3_3_wgs_324_tpt_324_halfLds_dp_ip_CI_unitstride_sbrr_R2C_dirReg
	.globl	fft_rtc_back_len3888_factors_16_3_3_3_3_3_wgs_324_tpt_324_halfLds_dp_ip_CI_unitstride_sbrr_R2C_dirReg
	.p2align	8
	.type	fft_rtc_back_len3888_factors_16_3_3_3_3_3_wgs_324_tpt_324_halfLds_dp_ip_CI_unitstride_sbrr_R2C_dirReg,@function
fft_rtc_back_len3888_factors_16_3_3_3_3_3_wgs_324_tpt_324_halfLds_dp_ip_CI_unitstride_sbrr_R2C_dirReg: ; @fft_rtc_back_len3888_factors_16_3_3_3_3_3_wgs_324_tpt_324_halfLds_dp_ip_CI_unitstride_sbrr_R2C_dirReg
; %bb.0:
	s_load_dwordx2 s[2:3], s[4:5], 0x50
	s_load_dwordx4 s[8:11], s[4:5], 0x0
	s_load_dwordx2 s[12:13], s[4:5], 0x18
	v_mul_u32_u24_e32 v1, 0x195, v0
	v_lshrrev_b32_e32 v1, 17, v1
	v_add_u32_e32 v5, s6, v1
	s_waitcnt lgkmcnt(0)
	v_cmp_lt_u64_e64 s[0:1], s[10:11], 2
	v_mov_b32_e32 v3, 0
	v_mov_b32_e32 v1, 0
	;; [unrolled: 1-line block ×3, first 2 shown]
	s_and_b64 vcc, exec, s[0:1]
	v_mov_b32_e32 v2, 0
	s_cbranch_vccnz .LBB0_8
; %bb.1:
	s_load_dwordx2 s[0:1], s[4:5], 0x10
	s_add_u32 s6, s12, 8
	s_addc_u32 s7, s13, 0
	v_mov_b32_e32 v1, 0
	v_mov_b32_e32 v2, 0
	s_waitcnt lgkmcnt(0)
	s_add_u32 s14, s0, 8
	s_addc_u32 s15, s1, 0
	s_mov_b64 s[16:17], 1
.LBB0_2:                                ; =>This Inner Loop Header: Depth=1
	s_load_dwordx2 s[18:19], s[14:15], 0x0
                                        ; implicit-def: $vgpr7_vgpr8
	s_waitcnt lgkmcnt(0)
	v_or_b32_e32 v4, s19, v6
	v_cmp_ne_u64_e32 vcc, 0, v[3:4]
	s_and_saveexec_b64 s[0:1], vcc
	s_xor_b64 s[20:21], exec, s[0:1]
	s_cbranch_execz .LBB0_4
; %bb.3:                                ;   in Loop: Header=BB0_2 Depth=1
	v_cvt_f32_u32_e32 v4, s18
	v_cvt_f32_u32_e32 v7, s19
	s_sub_u32 s0, 0, s18
	s_subb_u32 s1, 0, s19
	v_mac_f32_e32 v4, 0x4f800000, v7
	v_rcp_f32_e32 v4, v4
	v_mul_f32_e32 v4, 0x5f7ffffc, v4
	v_mul_f32_e32 v7, 0x2f800000, v4
	v_trunc_f32_e32 v7, v7
	v_mac_f32_e32 v4, 0xcf800000, v7
	v_cvt_u32_f32_e32 v7, v7
	v_cvt_u32_f32_e32 v4, v4
	v_mul_lo_u32 v8, s0, v7
	v_mul_hi_u32 v9, s0, v4
	v_mul_lo_u32 v11, s1, v4
	v_mul_lo_u32 v10, s0, v4
	v_add_u32_e32 v8, v9, v8
	v_add_u32_e32 v8, v8, v11
	v_mul_hi_u32 v9, v4, v10
	v_mul_lo_u32 v11, v4, v8
	v_mul_hi_u32 v13, v4, v8
	v_mul_hi_u32 v12, v7, v10
	v_mul_lo_u32 v10, v7, v10
	v_mul_hi_u32 v14, v7, v8
	v_add_co_u32_e32 v9, vcc, v9, v11
	v_addc_co_u32_e32 v11, vcc, 0, v13, vcc
	v_mul_lo_u32 v8, v7, v8
	v_add_co_u32_e32 v9, vcc, v9, v10
	v_addc_co_u32_e32 v9, vcc, v11, v12, vcc
	v_addc_co_u32_e32 v10, vcc, 0, v14, vcc
	v_add_co_u32_e32 v8, vcc, v9, v8
	v_addc_co_u32_e32 v9, vcc, 0, v10, vcc
	v_add_co_u32_e32 v4, vcc, v4, v8
	v_addc_co_u32_e32 v7, vcc, v7, v9, vcc
	v_mul_lo_u32 v8, s0, v7
	v_mul_hi_u32 v9, s0, v4
	v_mul_lo_u32 v10, s1, v4
	v_mul_lo_u32 v11, s0, v4
	v_add_u32_e32 v8, v9, v8
	v_add_u32_e32 v8, v8, v10
	v_mul_lo_u32 v12, v4, v8
	v_mul_hi_u32 v13, v4, v11
	v_mul_hi_u32 v14, v4, v8
	;; [unrolled: 1-line block ×3, first 2 shown]
	v_mul_lo_u32 v11, v7, v11
	v_mul_hi_u32 v9, v7, v8
	v_add_co_u32_e32 v12, vcc, v13, v12
	v_addc_co_u32_e32 v13, vcc, 0, v14, vcc
	v_mul_lo_u32 v8, v7, v8
	v_add_co_u32_e32 v11, vcc, v12, v11
	v_addc_co_u32_e32 v10, vcc, v13, v10, vcc
	v_addc_co_u32_e32 v9, vcc, 0, v9, vcc
	v_add_co_u32_e32 v8, vcc, v10, v8
	v_addc_co_u32_e32 v9, vcc, 0, v9, vcc
	v_add_co_u32_e32 v4, vcc, v4, v8
	v_addc_co_u32_e32 v9, vcc, v7, v9, vcc
	v_mad_u64_u32 v[7:8], s[0:1], v5, v9, 0
	v_mul_hi_u32 v10, v5, v4
	v_add_co_u32_e32 v11, vcc, v10, v7
	v_addc_co_u32_e32 v12, vcc, 0, v8, vcc
	v_mad_u64_u32 v[7:8], s[0:1], v6, v4, 0
	v_mad_u64_u32 v[9:10], s[0:1], v6, v9, 0
	v_add_co_u32_e32 v4, vcc, v11, v7
	v_addc_co_u32_e32 v4, vcc, v12, v8, vcc
	v_addc_co_u32_e32 v7, vcc, 0, v10, vcc
	v_add_co_u32_e32 v4, vcc, v4, v9
	v_addc_co_u32_e32 v9, vcc, 0, v7, vcc
	v_mul_lo_u32 v10, s19, v4
	v_mul_lo_u32 v11, s18, v9
	v_mad_u64_u32 v[7:8], s[0:1], s18, v4, 0
	v_add3_u32 v8, v8, v11, v10
	v_sub_u32_e32 v10, v6, v8
	v_mov_b32_e32 v11, s19
	v_sub_co_u32_e32 v7, vcc, v5, v7
	v_subb_co_u32_e64 v10, s[0:1], v10, v11, vcc
	v_subrev_co_u32_e64 v11, s[0:1], s18, v7
	v_subbrev_co_u32_e64 v10, s[0:1], 0, v10, s[0:1]
	v_cmp_le_u32_e64 s[0:1], s19, v10
	v_cndmask_b32_e64 v12, 0, -1, s[0:1]
	v_cmp_le_u32_e64 s[0:1], s18, v11
	v_cndmask_b32_e64 v11, 0, -1, s[0:1]
	v_cmp_eq_u32_e64 s[0:1], s19, v10
	v_cndmask_b32_e64 v10, v12, v11, s[0:1]
	v_add_co_u32_e64 v11, s[0:1], 2, v4
	v_addc_co_u32_e64 v12, s[0:1], 0, v9, s[0:1]
	v_add_co_u32_e64 v13, s[0:1], 1, v4
	v_addc_co_u32_e64 v14, s[0:1], 0, v9, s[0:1]
	v_subb_co_u32_e32 v8, vcc, v6, v8, vcc
	v_cmp_ne_u32_e64 s[0:1], 0, v10
	v_cmp_le_u32_e32 vcc, s19, v8
	v_cndmask_b32_e64 v10, v14, v12, s[0:1]
	v_cndmask_b32_e64 v12, 0, -1, vcc
	v_cmp_le_u32_e32 vcc, s18, v7
	v_cndmask_b32_e64 v7, 0, -1, vcc
	v_cmp_eq_u32_e32 vcc, s19, v8
	v_cndmask_b32_e32 v7, v12, v7, vcc
	v_cmp_ne_u32_e32 vcc, 0, v7
	v_cndmask_b32_e64 v7, v13, v11, s[0:1]
	v_cndmask_b32_e32 v8, v9, v10, vcc
	v_cndmask_b32_e32 v7, v4, v7, vcc
.LBB0_4:                                ;   in Loop: Header=BB0_2 Depth=1
	s_andn2_saveexec_b64 s[0:1], s[20:21]
	s_cbranch_execz .LBB0_6
; %bb.5:                                ;   in Loop: Header=BB0_2 Depth=1
	v_cvt_f32_u32_e32 v4, s18
	s_sub_i32 s20, 0, s18
	v_rcp_iflag_f32_e32 v4, v4
	v_mul_f32_e32 v4, 0x4f7ffffe, v4
	v_cvt_u32_f32_e32 v4, v4
	v_mul_lo_u32 v7, s20, v4
	v_mul_hi_u32 v7, v4, v7
	v_add_u32_e32 v4, v4, v7
	v_mul_hi_u32 v4, v5, v4
	v_mul_lo_u32 v7, v4, s18
	v_add_u32_e32 v8, 1, v4
	v_sub_u32_e32 v7, v5, v7
	v_subrev_u32_e32 v9, s18, v7
	v_cmp_le_u32_e32 vcc, s18, v7
	v_cndmask_b32_e32 v7, v7, v9, vcc
	v_cndmask_b32_e32 v4, v4, v8, vcc
	v_add_u32_e32 v8, 1, v4
	v_cmp_le_u32_e32 vcc, s18, v7
	v_cndmask_b32_e32 v7, v4, v8, vcc
	v_mov_b32_e32 v8, v3
.LBB0_6:                                ;   in Loop: Header=BB0_2 Depth=1
	s_or_b64 exec, exec, s[0:1]
	v_mul_lo_u32 v4, v8, s18
	v_mul_lo_u32 v11, v7, s19
	v_mad_u64_u32 v[9:10], s[0:1], v7, s18, 0
	s_load_dwordx2 s[0:1], s[6:7], 0x0
	s_add_u32 s16, s16, 1
	v_add3_u32 v4, v10, v11, v4
	v_sub_co_u32_e32 v5, vcc, v5, v9
	v_subb_co_u32_e32 v4, vcc, v6, v4, vcc
	s_waitcnt lgkmcnt(0)
	v_mul_lo_u32 v4, s0, v4
	v_mul_lo_u32 v6, s1, v5
	v_mad_u64_u32 v[1:2], s[0:1], s0, v5, v[1:2]
	s_addc_u32 s17, s17, 0
	s_add_u32 s6, s6, 8
	v_add3_u32 v2, v6, v2, v4
	v_mov_b32_e32 v4, s10
	v_mov_b32_e32 v5, s11
	s_addc_u32 s7, s7, 0
	v_cmp_ge_u64_e32 vcc, s[16:17], v[4:5]
	s_add_u32 s14, s14, 8
	s_addc_u32 s15, s15, 0
	s_cbranch_vccnz .LBB0_9
; %bb.7:                                ;   in Loop: Header=BB0_2 Depth=1
	v_mov_b32_e32 v5, v7
	v_mov_b32_e32 v6, v8
	s_branch .LBB0_2
.LBB0_8:
	v_mov_b32_e32 v8, v6
	v_mov_b32_e32 v7, v5
.LBB0_9:
	s_lshl_b64 s[0:1], s[10:11], 3
	s_add_u32 s0, s12, s0
	s_addc_u32 s1, s13, s1
	s_load_dwordx2 s[6:7], s[0:1], 0x0
	s_load_dwordx2 s[10:11], s[4:5], 0x20
	v_mul_hi_u32_u24_e32 v5, 0xca4588, v0
	v_mul_u32_u24_e32 v5, 0x144, v5
	v_sub_u32_e32 v64, v0, v5
	s_waitcnt lgkmcnt(0)
	v_mul_lo_u32 v3, s6, v8
	v_mul_lo_u32 v4, s7, v7
	v_mad_u64_u32 v[1:2], s[0:1], s6, v7, v[1:2]
	v_cmp_gt_u64_e64 s[0:1], s[10:11], v[7:8]
	v_lshl_add_u32 v70, v64, 4, 0
	v_add3_u32 v2, v4, v2, v3
	v_lshlrev_b64 v[66:67], 4, v[1:2]
	s_and_saveexec_b64 s[4:5], s[0:1]
	s_cbranch_execz .LBB0_11
; %bb.10:
	v_mov_b32_e32 v65, 0
	v_mov_b32_e32 v0, s3
	v_add_co_u32_e32 v2, vcc, s2, v66
	v_addc_co_u32_e32 v3, vcc, v0, v67, vcc
	v_lshlrev_b64 v[0:1], 4, v[64:65]
	v_add_co_u32_e32 v40, vcc, v2, v0
	v_addc_co_u32_e32 v41, vcc, v3, v1, vcc
	v_add_co_u32_e32 v8, vcc, 0x1000, v40
	v_addc_co_u32_e32 v9, vcc, 0, v41, vcc
	;; [unrolled: 2-line block ×11, first 2 shown]
	v_add_co_u32_e32 v50, vcc, 0xd000, v40
	global_load_dwordx4 v[0:3], v[40:41], off
	global_load_dwordx4 v[4:7], v[8:9], off offset:1088
	s_nop 0
	global_load_dwordx4 v[8:11], v[16:17], off offset:2176
	global_load_dwordx4 v[12:15], v[18:19], off offset:3264
	s_nop 0
	global_load_dwordx4 v[16:19], v[24:25], off offset:256
	;; [unrolled: 3-line block ×4, first 2 shown]
	global_load_dwordx4 v[36:39], v[44:45], off offset:1600
	v_addc_co_u32_e32 v51, vcc, 0, v41, vcc
	global_load_dwordx4 v[40:43], v[48:49], off offset:2688
	global_load_dwordx4 v[44:47], v[50:51], off offset:3776
	s_waitcnt vmcnt(11)
	ds_write_b128 v70, v[0:3]
	s_waitcnt vmcnt(10)
	ds_write_b128 v70, v[4:7] offset:5184
	s_waitcnt vmcnt(9)
	ds_write_b128 v70, v[8:11] offset:10368
	;; [unrolled: 2-line block ×11, first 2 shown]
.LBB0_11:
	s_or_b64 exec, exec, s[4:5]
	s_waitcnt lgkmcnt(0)
	s_barrier
	ds_read_b128 v[4:7], v70 offset:3888
	ds_read_b128 v[0:3], v70 offset:7776
	;; [unrolled: 1-line block ×14, first 2 shown]
	ds_read_b128 v[12:15], v70
	ds_read_b128 v[52:55], v70 offset:58320
	s_movk_i32 s4, 0xf3
	v_cmp_gt_u32_e32 vcc, s4, v64
	s_waitcnt lgkmcnt(0)
	s_barrier
	s_and_saveexec_b64 s[4:5], vcc
	s_cbranch_execz .LBB0_13
; %bb.12:
	v_add_f64 v[68:69], v[14:15], -v[34:35]
	v_add_f64 v[36:37], v[16:17], -v[36:37]
	;; [unrolled: 1-line block ×18, first 2 shown]
	v_fma_f64 v[28:29], v[28:29], 2.0, -v[52:53]
	v_fma_f64 v[30:31], v[30:31], 2.0, -v[54:55]
	v_add_f64 v[73:74], v[42:43], -v[44:45]
	v_add_f64 v[52:53], v[50:51], -v[52:53]
	v_add_f64 v[54:55], v[48:49], v[54:55]
	v_add_f64 v[75:76], v[40:41], v[46:47]
	;; [unrolled: 1-line block ×4, first 2 shown]
	s_mov_b32 s6, 0x667f3bcd
	s_mov_b32 s7, 0x3fe6a09e
	v_fma_f64 v[24:25], v[24:25], 2.0, -v[44:45]
	v_fma_f64 v[26:27], v[26:27], 2.0, -v[46:47]
	v_fma_f64 v[20:21], v[20:21], 2.0, -v[60:61]
	v_fma_f64 v[22:23], v[22:23], 2.0, -v[62:63]
	v_fma_f64 v[44:45], v[71:72], s[6:7], v[34:35]
	v_fma_f64 v[46:47], v[52:53], s[6:7], v[73:74]
	;; [unrolled: 1-line block ×4, first 2 shown]
	s_mov_b32 s13, 0xbfe6a09e
	s_mov_b32 s12, s6
	v_fma_f64 v[16:17], v[16:17], 2.0, -v[36:37]
	v_fma_f64 v[18:19], v[18:19], 2.0, -v[38:39]
	v_fma_f64 v[36:37], v[77:78], s[12:13], v[44:45]
	v_fma_f64 v[38:39], v[54:55], s[12:13], v[46:47]
	v_fma_f64 v[44:45], v[52:53], s[6:7], v[60:61]
	v_fma_f64 v[46:47], v[71:72], s[6:7], v[62:63]
	v_fma_f64 v[60:61], v[6:7], 2.0, -v[42:43]
	v_fma_f64 v[62:63], v[4:5], 2.0, -v[40:41]
	;; [unrolled: 1-line block ×16, first 2 shown]
	v_add_f64 v[24:25], v[62:63], -v[24:25]
	v_add_f64 v[30:31], v[83:84], -v[30:31]
	;; [unrolled: 1-line block ×4, first 2 shown]
	v_fma_f64 v[8:9], v[2:3], s[12:13], v[42:43]
	v_fma_f64 v[10:11], v[4:5], s[12:13], v[40:41]
	;; [unrolled: 1-line block ×3, first 2 shown]
	s_mov_b32 s10, 0xcf328d46
	s_mov_b32 s11, 0x3fed906b
	v_add_f64 v[18:19], v[85:86], -v[18:19]
	v_add_f64 v[20:21], v[12:13], -v[20:21]
	;; [unrolled: 1-line block ×4, first 2 shown]
	v_fma_f64 v[50:51], v[0:1], s[12:13], v[48:49]
	v_add_f64 v[58:59], v[24:25], v[30:31]
	v_add_f64 v[68:69], v[16:17], v[22:23]
	v_fma_f64 v[71:72], v[4:5], s[12:13], v[8:9]
	v_fma_f64 v[77:78], v[2:3], s[6:7], v[10:11]
	;; [unrolled: 1-line block ×5, first 2 shown]
	s_mov_b32 s14, 0xa6aea964
	s_mov_b32 s15, 0xbfd87de2
	;; [unrolled: 1-line block ×4, first 2 shown]
	v_add_f64 v[54:55], v[18:19], -v[20:21]
	v_add_f64 v[56:57], v[26:27], -v[28:29]
	v_fma_f64 v[50:51], v[6:7], s[12:13], v[50:51]
	v_fma_f64 v[8:9], v[58:59], s[6:7], v[68:69]
	;; [unrolled: 1-line block ×5, first 2 shown]
	v_fma_f64 v[22:23], v[14:15], 2.0, -v[22:23]
	v_fma_f64 v[28:29], v[81:82], 2.0, -v[28:29]
	v_fma_f64 v[6:7], v[56:57], s[6:7], v[54:55]
	v_fma_f64 v[10:11], v[71:72], s[18:19], v[50:51]
	;; [unrolled: 1-line block ×4, first 2 shown]
	v_fma_f64 v[20:21], v[12:13], 2.0, -v[20:21]
	v_fma_f64 v[30:31], v[83:84], 2.0, -v[30:31]
	;; [unrolled: 1-line block ×15, first 2 shown]
	s_mov_b32 s17, 0xbfed906b
	s_mov_b32 s16, s10
	v_fma_f64 v[6:7], v[58:59], s[12:13], v[6:7]
	v_fma_f64 v[10:11], v[77:78], s[16:17], v[10:11]
	v_fma_f64 v[44:45], v[75:76], 2.0, -v[44:45]
	v_add_f64 v[28:29], v[34:35], -v[28:29]
	v_fma_f64 v[24:25], v[24:25], 2.0, -v[58:59]
	v_add_f64 v[58:59], v[42:43], -v[22:23]
	v_add_f64 v[75:76], v[46:47], -v[30:31]
	;; [unrolled: 1-line block ×3, first 2 shown]
	v_fma_f64 v[60:61], v[18:19], 2.0, -v[54:55]
	v_fma_f64 v[48:49], v[26:27], 2.0, -v[56:57]
	v_fma_f64 v[26:27], v[40:41], s[16:17], v[71:72]
	v_fma_f64 v[56:57], v[16:17], 2.0, -v[68:69]
	v_fma_f64 v[18:19], v[38:39], s[16:17], v[62:63]
	v_fma_f64 v[79:80], v[34:35], 2.0, -v[28:29]
	v_fma_f64 v[81:82], v[42:43], 2.0, -v[58:59]
	;; [unrolled: 1-line block ×4, first 2 shown]
	v_fma_f64 v[30:31], v[48:49], s[12:13], v[60:61]
	v_fma_f64 v[16:17], v[38:39], s[18:19], v[26:27]
	;; [unrolled: 1-line block ×6, first 2 shown]
	v_add_f64 v[34:35], v[81:82], -v[34:35]
	v_add_f64 v[32:33], v[83:84], -v[79:80]
	v_fma_f64 v[26:27], v[24:25], s[12:13], v[30:31]
	v_add_f64 v[30:31], v[58:59], -v[28:29]
	v_fma_f64 v[24:25], v[48:49], s[6:7], v[38:39]
	v_add_f64 v[28:29], v[77:78], v[75:76]
	v_fma_f64 v[42:43], v[44:45], s[16:17], v[40:41]
	v_fma_f64 v[40:41], v[52:53], s[10:11], v[46:47]
	v_fma_f64 v[38:39], v[50:51], 2.0, -v[10:11]
	v_fma_f64 v[50:51], v[81:82], 2.0, -v[34:35]
	v_fma_f64 v[48:49], v[83:84], 2.0, -v[32:33]
	v_fma_f64 v[22:23], v[54:55], 2.0, -v[6:7]
	v_fma_f64 v[54:55], v[62:63], 2.0, -v[18:19]
	v_fma_f64 v[52:53], v[71:72], 2.0, -v[16:17]
	v_fma_f64 v[46:47], v[58:59], 2.0, -v[30:31]
	v_fma_f64 v[58:59], v[60:61], 2.0, -v[26:27]
	v_fma_f64 v[56:57], v[56:57], 2.0, -v[24:25]
	v_fma_f64 v[62:63], v[73:74], 2.0, -v[42:43]
	v_fma_f64 v[60:61], v[36:37], 2.0, -v[40:41]
	v_fma_f64 v[44:45], v[77:78], 2.0, -v[28:29]
	v_fma_f64 v[36:37], v[89:90], 2.0, -v[8:9]
	v_fma_f64 v[20:21], v[68:69], 2.0, -v[4:5]
	s_movk_i32 s6, 0xf0
	v_mad_u32_u24 v65, v64, s6, v70
	ds_write_b128 v65, v[48:51]
	ds_write_b128 v65, v[52:55] offset:16
	ds_write_b128 v65, v[56:59] offset:32
	;; [unrolled: 1-line block ×15, first 2 shown]
.LBB0_13:
	s_or_b64 exec, exec, s[4:5]
	v_and_b32_e32 v0, 15, v64
	v_lshlrev_b32_e32 v1, 5, v0
	s_waitcnt lgkmcnt(0)
	s_barrier
	global_load_dwordx4 v[4:7], v1, s[8:9] offset:16
	global_load_dwordx4 v[13:16], v1, s[8:9]
	v_add_u32_e32 v8, 0x144, v64
	v_and_b32_e32 v1, 15, v8
	v_add_u32_e32 v10, 0x288, v64
	v_lshlrev_b32_e32 v2, 5, v1
	global_load_dwordx4 v[17:20], v2, s[8:9] offset:16
	global_load_dwordx4 v[21:24], v2, s[8:9]
	v_and_b32_e32 v2, 15, v10
	v_lshlrev_b32_e32 v3, 5, v2
	v_add_u32_e32 v12, 0x3cc, v64
	global_load_dwordx4 v[25:28], v3, s[8:9] offset:16
	global_load_dwordx4 v[29:32], v3, s[8:9]
	v_and_b32_e32 v3, 15, v12
	v_lshlrev_b32_e32 v9, 5, v3
	global_load_dwordx4 v[33:36], v9, s[8:9]
	global_load_dwordx4 v[37:40], v9, s[8:9] offset:16
	ds_read_b128 v[41:44], v70 offset:5184
	ds_read_b128 v[45:48], v70 offset:10368
	;; [unrolled: 1-line block ×10, first 2 shown]
	ds_read_b128 v[91:94], v70
	ds_read_b128 v[95:98], v70 offset:57024
	s_mov_b32 s4, 0xe8584caa
	s_mov_b32 s5, 0xbfebb67a
	;; [unrolled: 1-line block ×4, first 2 shown]
	v_lshrrev_b32_e32 v9, 4, v64
	v_mul_u32_u24_e32 v9, 48, v9
	v_or_b32_e32 v0, v9, v0
	v_lshl_add_u32 v0, v0, 4, 0
	s_waitcnt vmcnt(0) lgkmcnt(0)
	s_barrier
	s_mov_b32 s10, 0xaaab
	s_movk_i32 s11, 0x1000
	s_movk_i32 s12, 0x6c
	v_mul_f64 v[68:69], v[85:86], v[6:7]
	v_mul_f64 v[61:62], v[77:78], v[15:16]
	;; [unrolled: 1-line block ×15, first 2 shown]
	v_fma_f64 v[61:62], v[75:76], v[13:14], v[61:62]
	v_fma_f64 v[13:14], v[77:78], v[13:14], -v[15:16]
	v_mul_f64 v[15:16], v[95:96], v[39:40]
	v_fma_f64 v[39:40], v[83:84], v[4:5], v[68:69]
	v_fma_f64 v[6:7], v[85:86], v[4:5], -v[6:7]
	v_fma_f64 v[4:5], v[49:50], v[21:22], v[99:100]
	v_fma_f64 v[21:22], v[51:52], v[21:22], -v[23:24]
	;; [unrolled: 2-line block ×6, first 2 shown]
	v_add_f64 v[27:28], v[61:62], v[39:40]
	v_add_f64 v[33:34], v[13:14], -v[6:7]
	v_add_f64 v[35:36], v[93:94], v[13:14]
	v_add_f64 v[13:14], v[13:14], v[6:7]
	v_fma_f64 v[55:56], v[97:98], v[37:38], -v[15:16]
	v_fma_f64 v[53:54], v[95:96], v[37:38], v[109:110]
	v_add_f64 v[15:16], v[91:92], v[61:62]
	v_add_f64 v[37:38], v[61:62], -v[39:40]
	v_add_f64 v[59:60], v[4:5], v[23:24]
	v_add_f64 v[61:62], v[21:22], -v[17:18]
	v_add_f64 v[68:69], v[43:44], v[21:22]
	v_add_f64 v[21:22], v[21:22], v[17:18]
	;; [unrolled: 1-line block ×4, first 2 shown]
	v_add_f64 v[77:78], v[29:30], -v[49:50]
	v_add_f64 v[83:84], v[47:48], v[29:30]
	v_add_f64 v[29:30], v[29:30], v[49:50]
	v_fma_f64 v[27:28], v[27:28], -0.5, v[91:92]
	v_add_f64 v[6:7], v[35:36], v[6:7]
	v_fma_f64 v[35:36], v[13:14], -0.5, v[93:94]
	v_add_f64 v[89:90], v[25:26], -v[55:56]
	v_add_f64 v[95:96], v[81:82], v[25:26]
	v_add_f64 v[25:26], v[25:26], v[55:56]
	;; [unrolled: 1-line block ×3, first 2 shown]
	v_add_f64 v[85:86], v[19:20], -v[31:32]
	v_add_f64 v[19:20], v[51:52], v[53:54]
	v_add_f64 v[71:72], v[4:5], -v[23:24]
	v_add_f64 v[4:5], v[15:16], v[39:40]
	v_fma_f64 v[39:40], v[59:60], -0.5, v[41:42]
	v_fma_f64 v[41:42], v[21:22], -0.5, v[43:44]
	v_add_f64 v[13:14], v[57:58], v[23:24]
	v_fma_f64 v[43:44], v[75:76], -0.5, v[45:46]
	v_fma_f64 v[45:46], v[29:30], -0.5, v[47:48]
	v_fma_f64 v[21:22], v[33:34], s[4:5], v[27:28]
	v_fma_f64 v[23:24], v[37:38], s[6:7], v[35:36]
	v_fma_f64 v[57:58], v[25:26], -0.5, v[81:82]
	v_fma_f64 v[25:26], v[33:34], s[6:7], v[27:28]
	v_fma_f64 v[27:28], v[37:38], s[4:5], v[35:36]
	v_add_f64 v[87:88], v[79:80], v[51:52]
	v_add_f64 v[15:16], v[68:69], v[17:18]
	v_fma_f64 v[47:48], v[19:20], -0.5, v[79:80]
	v_add_f64 v[17:18], v[73:74], v[31:32]
	v_fma_f64 v[29:30], v[61:62], s[4:5], v[39:40]
	v_fma_f64 v[31:32], v[71:72], s[6:7], v[41:42]
	v_add_f64 v[59:60], v[51:52], -v[53:54]
	v_fma_f64 v[33:34], v[61:62], s[6:7], v[39:40]
	v_fma_f64 v[35:36], v[71:72], s[4:5], v[41:42]
	v_add_f64 v[19:20], v[83:84], v[49:50]
	ds_write_b128 v0, v[4:7]
	ds_write_b128 v0, v[21:24] offset:256
	ds_write_b128 v0, v[25:28] offset:512
	v_lshrrev_b32_e32 v0, 4, v8
	v_fma_f64 v[37:38], v[77:78], s[4:5], v[43:44]
	v_fma_f64 v[39:40], v[85:86], s[6:7], v[45:46]
	v_mul_u32_u24_e32 v0, 48, v0
	v_fma_f64 v[41:42], v[77:78], s[6:7], v[43:44]
	v_fma_f64 v[43:44], v[85:86], s[4:5], v[45:46]
	v_or_b32_e32 v0, v0, v1
	v_lshl_add_u32 v0, v0, 4, 0
	v_add_f64 v[45:46], v[87:88], v[53:54]
	v_fma_f64 v[49:50], v[89:90], s[4:5], v[47:48]
	v_fma_f64 v[53:54], v[89:90], s[6:7], v[47:48]
	v_add_f64 v[47:48], v[95:96], v[55:56]
	ds_write_b128 v0, v[13:16]
	ds_write_b128 v0, v[29:32] offset:256
	ds_write_b128 v0, v[33:36] offset:512
	v_lshrrev_b32_e32 v0, 4, v10
	v_fma_f64 v[51:52], v[59:60], s[6:7], v[57:58]
	v_mul_u32_u24_e32 v0, 48, v0
	v_fma_f64 v[55:56], v[59:60], s[4:5], v[57:58]
	v_or_b32_e32 v0, v0, v2
	v_lshl_add_u32 v0, v0, 4, 0
	ds_write_b128 v0, v[17:20]
	ds_write_b128 v0, v[37:40] offset:256
	ds_write_b128 v0, v[41:44] offset:512
	v_lshrrev_b32_e32 v0, 4, v12
	v_mul_u32_u24_e32 v0, 48, v0
	v_or_b32_e32 v0, v0, v3
	v_lshl_add_u32 v0, v0, 4, 0
	ds_write_b128 v0, v[45:48]
	ds_write_b128 v0, v[49:52] offset:256
	ds_write_b128 v0, v[53:56] offset:512
	v_mul_u32_u24_sdwa v0, v64, s10 dst_sel:DWORD dst_unused:UNUSED_PAD src0_sel:WORD_0 src1_sel:DWORD
	v_lshrrev_b32_e32 v0, 21, v0
	v_mul_lo_u16_e32 v1, 48, v0
	v_sub_u16_e32 v1, v64, v1
	v_lshlrev_b32_e32 v2, 5, v1
	s_waitcnt lgkmcnt(0)
	s_barrier
	global_load_dwordx4 v[13:16], v2, s[8:9] offset:528
	global_load_dwordx4 v[17:20], v2, s[8:9] offset:512
	v_mul_u32_u24_sdwa v2, v8, s10 dst_sel:DWORD dst_unused:UNUSED_PAD src0_sel:WORD_0 src1_sel:DWORD
	v_lshrrev_b32_e32 v2, 21, v2
	v_mul_lo_u16_e32 v3, 48, v2
	v_sub_u16_e32 v3, v8, v3
	v_lshlrev_b32_e32 v4, 5, v3
	global_load_dwordx4 v[21:24], v4, s[8:9] offset:512
	global_load_dwordx4 v[25:28], v4, s[8:9] offset:528
	v_mul_u32_u24_sdwa v4, v10, s10 dst_sel:DWORD dst_unused:UNUSED_PAD src0_sel:WORD_0 src1_sel:DWORD
	v_lshrrev_b32_e32 v4, 21, v4
	v_mul_lo_u16_e32 v5, 48, v4
	v_sub_u16_e32 v5, v10, v5
	v_lshlrev_b32_e32 v6, 5, v5
	;; [unrolled: 7-line block ×3, first 2 shown]
	global_load_dwordx4 v[37:40], v9, s[8:9] offset:512
	global_load_dwordx4 v[41:44], v9, s[8:9] offset:528
	ds_read_b128 v[45:48], v70 offset:20736
	ds_read_b128 v[49:52], v70 offset:41472
	;; [unrolled: 1-line block ×10, first 2 shown]
	ds_read_b128 v[95:98], v70
	ds_read_b128 v[99:102], v70 offset:57024
	v_mul_u32_u24_e32 v0, 0x900, v0
	v_lshlrev_b32_e32 v1, 4, v1
	v_add3_u32 v0, 0, v0, v1
	s_waitcnt vmcnt(0) lgkmcnt(0)
	s_barrier
	v_lshlrev_b32_e32 v1, 4, v3
	s_mov_b32 s10, 0xe38f
	v_mul_f64 v[68:69], v[51:52], v[15:16]
	v_mul_f64 v[61:62], v[47:48], v[19:20]
	;; [unrolled: 1-line block ×7, first 2 shown]
	v_fma_f64 v[45:46], v[45:46], v[17:18], v[61:62]
	v_fma_f64 v[17:18], v[47:48], v[17:18], -v[19:20]
	v_fma_f64 v[19:20], v[49:50], v[13:14], v[68:69]
	v_fma_f64 v[15:16], v[51:52], v[13:14], -v[15:16]
	v_mul_f64 v[13:14], v[79:80], v[27:28]
	v_fma_f64 v[27:28], v[71:72], v[21:22], v[103:104]
	v_mul_f64 v[47:48], v[77:78], v[31:32]
	v_mul_f64 v[31:32], v[75:76], v[31:32]
	v_fma_f64 v[49:50], v[73:74], v[21:22], -v[23:24]
	v_mul_f64 v[21:22], v[85:86], v[35:36]
	v_mul_f64 v[23:24], v[83:84], v[35:36]
	v_fma_f64 v[51:52], v[79:80], v[25:26], v[105:106]
	v_fma_f64 v[35:36], v[81:82], v[25:26], -v[13:14]
	v_mul_f64 v[13:14], v[93:94], v[39:40]
	v_fma_f64 v[47:48], v[75:76], v[29:30], v[47:48]
	v_fma_f64 v[61:62], v[77:78], v[29:30], -v[31:32]
	v_mul_f64 v[25:26], v[91:92], v[39:40]
	v_fma_f64 v[39:40], v[83:84], v[33:34], v[21:22]
	v_add_f64 v[21:22], v[45:46], v[19:20]
	v_add_f64 v[29:30], v[95:96], v[45:46]
	v_fma_f64 v[68:69], v[85:86], v[33:34], -v[23:24]
	v_fma_f64 v[71:72], v[91:92], v[37:38], v[13:14]
	v_mul_f64 v[13:14], v[99:100], v[43:44]
	v_mul_f64 v[23:24], v[101:102], v[43:44]
	v_fma_f64 v[43:44], v[93:94], v[37:38], -v[25:26]
	v_add_f64 v[25:26], v[17:18], v[15:16]
	v_fma_f64 v[21:22], v[21:22], -0.5, v[95:96]
	v_add_f64 v[31:32], v[17:18], -v[15:16]
	v_add_f64 v[33:34], v[45:46], -v[19:20]
	v_add_f64 v[37:38], v[53:54], v[27:28]
	v_fma_f64 v[75:76], v[101:102], v[41:42], -v[13:14]
	v_add_f64 v[13:14], v[29:30], v[19:20]
	v_add_f64 v[29:30], v[27:28], v[51:52]
	v_fma_f64 v[73:74], v[99:100], v[41:42], v[23:24]
	v_add_f64 v[23:24], v[97:98], v[17:18]
	v_fma_f64 v[25:26], v[25:26], -0.5, v[97:98]
	v_fma_f64 v[17:18], v[31:32], s[4:5], v[21:22]
	v_fma_f64 v[21:22], v[31:32], s[6:7], v[21:22]
	v_add_f64 v[31:32], v[49:50], v[35:36]
	v_add_f64 v[45:46], v[49:50], -v[35:36]
	v_fma_f64 v[41:42], v[29:30], -0.5, v[53:54]
	v_add_f64 v[53:54], v[47:48], v[39:40]
	v_add_f64 v[49:50], v[55:56], v[49:50]
	;; [unrolled: 1-line block ×3, first 2 shown]
	v_fma_f64 v[19:20], v[33:34], s[6:7], v[25:26]
	v_fma_f64 v[23:24], v[33:34], s[4:5], v[25:26]
	v_fma_f64 v[55:56], v[31:32], -0.5, v[55:56]
	v_add_f64 v[77:78], v[27:28], -v[51:52]
	v_add_f64 v[25:26], v[37:38], v[51:52]
	v_fma_f64 v[51:52], v[53:54], -0.5, v[57:58]
	v_add_f64 v[53:54], v[61:62], -v[68:69]
	v_add_f64 v[27:28], v[49:50], v[35:36]
	v_add_f64 v[49:50], v[61:62], v[68:69]
	v_fma_f64 v[29:30], v[45:46], s[4:5], v[41:42]
	v_fma_f64 v[33:34], v[45:46], s[6:7], v[41:42]
	;; [unrolled: 1-line block ×4, first 2 shown]
	v_add_f64 v[55:56], v[71:72], v[73:74]
	v_fma_f64 v[41:42], v[53:54], s[4:5], v[51:52]
	v_fma_f64 v[45:46], v[53:54], s[6:7], v[51:52]
	v_add_f64 v[51:52], v[43:44], v[75:76]
	v_add_f64 v[37:38], v[57:58], v[47:48]
	;; [unrolled: 1-line block ×3, first 2 shown]
	v_fma_f64 v[49:50], v[49:50], -0.5, v[59:60]
	v_add_f64 v[47:48], v[47:48], -v[39:40]
	v_add_f64 v[57:58], v[87:88], v[71:72]
	v_add_f64 v[61:62], v[89:90], v[43:44]
	v_fma_f64 v[55:56], v[55:56], -0.5, v[87:88]
	v_add_f64 v[59:60], v[43:44], -v[75:76]
	v_fma_f64 v[77:78], v[51:52], -0.5, v[89:90]
	v_add_f64 v[71:72], v[71:72], -v[73:74]
	v_add_f64 v[37:38], v[37:38], v[39:40]
	v_add_f64 v[39:40], v[53:54], v[68:69]
	v_fma_f64 v[43:44], v[47:48], s[6:7], v[49:50]
	v_fma_f64 v[47:48], v[47:48], s[4:5], v[49:50]
	v_add_f64 v[49:50], v[57:58], v[73:74]
	v_add_f64 v[51:52], v[61:62], v[75:76]
	v_fma_f64 v[53:54], v[59:60], s[4:5], v[55:56]
	v_fma_f64 v[57:58], v[59:60], s[6:7], v[55:56]
	;; [unrolled: 1-line block ×4, first 2 shown]
	ds_write_b128 v0, v[13:16]
	ds_write_b128 v0, v[17:20] offset:768
	ds_write_b128 v0, v[21:24] offset:1536
	v_mul_u32_u24_e32 v0, 0x900, v2
	v_add3_u32 v0, 0, v0, v1
	ds_write_b128 v0, v[25:28]
	ds_write_b128 v0, v[29:32] offset:768
	ds_write_b128 v0, v[33:36] offset:1536
	v_mul_u32_u24_e32 v0, 0x900, v4
	v_lshlrev_b32_e32 v1, 4, v5
	v_add3_u32 v0, 0, v0, v1
	ds_write_b128 v0, v[37:40]
	ds_write_b128 v0, v[41:44] offset:768
	ds_write_b128 v0, v[45:48] offset:1536
	v_mul_u32_u24_e32 v0, 0x900, v6
	v_lshlrev_b32_e32 v1, 4, v7
	v_add3_u32 v0, 0, v0, v1
	ds_write_b128 v0, v[49:52]
	ds_write_b128 v0, v[53:56] offset:768
	ds_write_b128 v0, v[57:60] offset:1536
	v_mul_u32_u24_sdwa v0, v64, s10 dst_sel:DWORD dst_unused:UNUSED_PAD src0_sel:WORD_0 src1_sel:DWORD
	v_lshrrev_b32_e32 v0, 23, v0
	v_mul_lo_u16_e32 v1, 0x90, v0
	v_sub_u16_e32 v1, v64, v1
	v_lshlrev_b32_e32 v2, 5, v1
	s_waitcnt lgkmcnt(0)
	s_barrier
	global_load_dwordx4 v[13:16], v2, s[8:9] offset:2048
	global_load_dwordx4 v[17:20], v2, s[8:9] offset:2064
	v_mul_u32_u24_sdwa v2, v8, s10 dst_sel:DWORD dst_unused:UNUSED_PAD src0_sel:WORD_0 src1_sel:DWORD
	v_lshrrev_b32_e32 v2, 23, v2
	v_mul_lo_u16_e32 v3, 0x90, v2
	v_sub_u16_e32 v3, v8, v3
	v_lshlrev_b32_e32 v4, 5, v3
	global_load_dwordx4 v[21:24], v4, s[8:9] offset:2048
	global_load_dwordx4 v[25:28], v4, s[8:9] offset:2064
	v_mul_u32_u24_sdwa v4, v10, s10 dst_sel:DWORD dst_unused:UNUSED_PAD src0_sel:WORD_0 src1_sel:DWORD
	v_lshrrev_b32_e32 v4, 23, v4
	v_mul_lo_u16_e32 v5, 0x90, v4
	v_sub_u16_e32 v5, v10, v5
	v_lshlrev_b32_e32 v6, 5, v5
	;; [unrolled: 7-line block ×3, first 2 shown]
	global_load_dwordx4 v[37:40], v9, s[8:9] offset:2048
	global_load_dwordx4 v[41:44], v9, s[8:9] offset:2064
	ds_read_b128 v[45:48], v70 offset:20736
	ds_read_b128 v[49:52], v70 offset:41472
	;; [unrolled: 1-line block ×10, first 2 shown]
	ds_read_b128 v[95:98], v70
	ds_read_b128 v[99:102], v70 offset:57024
	v_mul_u32_u24_e32 v0, 0x1b00, v0
	v_lshlrev_b32_e32 v1, 4, v1
	v_add3_u32 v0, 0, v0, v1
	s_waitcnt vmcnt(0) lgkmcnt(0)
	s_barrier
	v_lshlrev_b32_e32 v1, 4, v3
	s_movk_i32 s10, 0x1a00
	v_mul_f64 v[61:62], v[47:48], v[15:16]
	v_mul_f64 v[15:16], v[45:46], v[15:16]
	;; [unrolled: 1-line block ×5, first 2 shown]
	v_fma_f64 v[45:46], v[45:46], v[13:14], v[61:62]
	v_fma_f64 v[13:14], v[47:48], v[13:14], -v[15:16]
	v_mul_f64 v[15:16], v[71:72], v[23:24]
	v_fma_f64 v[23:24], v[49:50], v[17:18], v[68:69]
	v_mul_f64 v[47:48], v[81:82], v[27:28]
	v_fma_f64 v[19:20], v[51:52], v[17:18], -v[19:20]
	v_mul_f64 v[17:18], v[79:80], v[27:28]
	v_fma_f64 v[27:28], v[71:72], v[21:22], v[103:104]
	v_mul_f64 v[49:50], v[77:78], v[31:32]
	v_mul_f64 v[31:32], v[75:76], v[31:32]
	v_fma_f64 v[51:52], v[73:74], v[21:22], -v[15:16]
	v_mul_f64 v[15:16], v[85:86], v[35:36]
	v_fma_f64 v[47:48], v[79:80], v[25:26], v[47:48]
	v_mul_f64 v[21:22], v[83:84], v[35:36]
	v_fma_f64 v[35:36], v[81:82], v[25:26], -v[17:18]
	v_mul_f64 v[17:18], v[93:94], v[39:40]
	v_mul_f64 v[25:26], v[91:92], v[39:40]
	v_fma_f64 v[49:50], v[75:76], v[29:30], v[49:50]
	v_fma_f64 v[61:62], v[77:78], v[29:30], -v[31:32]
	v_fma_f64 v[39:40], v[83:84], v[33:34], v[15:16]
	v_add_f64 v[15:16], v[45:46], v[23:24]
	v_fma_f64 v[68:69], v[85:86], v[33:34], -v[21:22]
	v_mul_f64 v[21:22], v[101:102], v[43:44]
	v_fma_f64 v[71:72], v[91:92], v[37:38], v[17:18]
	v_mul_f64 v[17:18], v[99:100], v[43:44]
	v_add_f64 v[29:30], v[95:96], v[45:46]
	v_fma_f64 v[43:44], v[93:94], v[37:38], -v[25:26]
	v_add_f64 v[25:26], v[13:14], v[19:20]
	v_fma_f64 v[15:16], v[15:16], -0.5, v[95:96]
	v_add_f64 v[31:32], v[13:14], -v[19:20]
	v_add_f64 v[33:34], v[97:98], v[13:14]
	v_fma_f64 v[73:74], v[99:100], v[41:42], v[21:22]
	v_fma_f64 v[75:76], v[101:102], v[41:42], -v[17:18]
	v_add_f64 v[13:14], v[29:30], v[23:24]
	v_add_f64 v[29:30], v[27:28], v[47:48]
	v_fma_f64 v[25:26], v[25:26], -0.5, v[97:98]
	v_add_f64 v[23:24], v[45:46], -v[23:24]
	v_fma_f64 v[17:18], v[31:32], s[4:5], v[15:16]
	v_fma_f64 v[21:22], v[31:32], s[6:7], v[15:16]
	v_add_f64 v[15:16], v[33:34], v[19:20]
	v_add_f64 v[31:32], v[51:52], v[35:36]
	;; [unrolled: 1-line block ×3, first 2 shown]
	v_add_f64 v[41:42], v[51:52], -v[35:36]
	v_add_f64 v[51:52], v[55:56], v[51:52]
	v_add_f64 v[45:46], v[49:50], v[39:40]
	v_fma_f64 v[37:38], v[29:30], -0.5, v[53:54]
	v_fma_f64 v[19:20], v[23:24], s[6:7], v[25:26]
	v_fma_f64 v[23:24], v[23:24], s[4:5], v[25:26]
	v_fma_f64 v[53:54], v[31:32], -0.5, v[55:56]
	v_add_f64 v[55:56], v[27:28], -v[47:48]
	v_add_f64 v[25:26], v[33:34], v[47:48]
	v_add_f64 v[47:48], v[57:58], v[49:50]
	v_add_f64 v[27:28], v[51:52], v[35:36]
	v_add_f64 v[51:52], v[61:62], v[68:69]
	v_fma_f64 v[45:46], v[45:46], -0.5, v[57:58]
	v_add_f64 v[57:58], v[61:62], -v[68:69]
	v_fma_f64 v[29:30], v[41:42], s[4:5], v[37:38]
	v_fma_f64 v[33:34], v[41:42], s[6:7], v[37:38]
	;; [unrolled: 1-line block ×4, first 2 shown]
	v_add_f64 v[37:38], v[47:48], v[39:40]
	v_add_f64 v[47:48], v[71:72], v[73:74]
	;; [unrolled: 1-line block ×4, first 2 shown]
	v_fma_f64 v[51:52], v[51:52], -0.5, v[59:60]
	v_add_f64 v[49:50], v[49:50], -v[39:40]
	v_fma_f64 v[41:42], v[57:58], s[4:5], v[45:46]
	v_fma_f64 v[45:46], v[57:58], s[6:7], v[45:46]
	v_add_f64 v[57:58], v[87:88], v[71:72]
	v_add_f64 v[77:78], v[89:90], v[43:44]
	v_fma_f64 v[59:60], v[47:48], -0.5, v[87:88]
	v_add_f64 v[61:62], v[43:44], -v[75:76]
	v_fma_f64 v[79:80], v[53:54], -0.5, v[89:90]
	v_add_f64 v[71:72], v[71:72], -v[73:74]
	v_add_f64 v[39:40], v[55:56], v[68:69]
	v_fma_f64 v[43:44], v[49:50], s[6:7], v[51:52]
	v_fma_f64 v[47:48], v[49:50], s[4:5], v[51:52]
	v_add_f64 v[49:50], v[57:58], v[73:74]
	v_add_f64 v[51:52], v[77:78], v[75:76]
	ds_write_b128 v0, v[13:16]
	ds_write_b128 v0, v[17:20] offset:2304
	ds_write_b128 v0, v[21:24] offset:4608
	v_mul_u32_u24_e32 v0, 0x1b00, v2
	v_fma_f64 v[53:54], v[61:62], s[4:5], v[59:60]
	v_fma_f64 v[55:56], v[71:72], s[6:7], v[79:80]
	v_add3_u32 v0, 0, v0, v1
	v_fma_f64 v[57:58], v[61:62], s[6:7], v[59:60]
	v_fma_f64 v[59:60], v[71:72], s[4:5], v[79:80]
	ds_write_b128 v0, v[25:28]
	ds_write_b128 v0, v[29:32] offset:2304
	ds_write_b128 v0, v[33:36] offset:4608
	v_mul_u32_u24_e32 v0, 0x1b00, v4
	v_lshlrev_b32_e32 v1, 4, v5
	v_add3_u32 v0, 0, v0, v1
	ds_write_b128 v0, v[37:40]
	ds_write_b128 v0, v[41:44] offset:2304
	ds_write_b128 v0, v[45:48] offset:4608
	v_mul_u32_u24_e32 v0, 0x1b00, v6
	v_lshlrev_b32_e32 v1, 4, v7
	v_add3_u32 v0, 0, v0, v1
	v_lshlrev_b32_e32 v1, 1, v64
	v_mov_b32_e32 v2, 0
	v_lshlrev_b64 v[3:4], 4, v[1:2]
	ds_write_b128 v0, v[49:52]
	ds_write_b128 v0, v[53:56] offset:2304
	ds_write_b128 v0, v[57:60] offset:4608
	v_mov_b32_e32 v0, s9
	v_add_co_u32_e32 v3, vcc, s8, v3
	v_addc_co_u32_e32 v4, vcc, v0, v4, vcc
	v_add_co_u32_e32 v5, vcc, s10, v3
	v_addc_co_u32_e32 v6, vcc, 0, v4, vcc
	;; [unrolled: 2-line block ×3, first 2 shown]
	v_add_u32_e32 v1, 0xffffff94, v64
	v_cmp_gt_u32_e32 vcc, s12, v64
	s_waitcnt lgkmcnt(0)
	s_barrier
	global_load_dwordx4 v[13:16], v[13:14], off offset:2560
	s_nop 0
	global_load_dwordx4 v[17:20], v[5:6], off offset:16
	v_cndmask_b32_e32 v5, v1, v8, vcc
	v_lshlrev_b32_e32 v1, 1, v5
	v_lshlrev_b64 v[6:7], 4, v[1:2]
	v_lshlrev_b32_e32 v5, 4, v5
	v_add_co_u32_e32 v1, vcc, s8, v6
	v_addc_co_u32_e32 v9, vcc, v0, v7, vcc
	v_add_co_u32_e32 v6, vcc, s10, v1
	v_addc_co_u32_e32 v7, vcc, 0, v9, vcc
	v_add_co_u32_e32 v29, vcc, s11, v1
	v_lshrrev_b16_e32 v1, 4, v10
	v_mul_u32_u24_e32 v1, 0x12f7, v1
	v_addc_co_u32_e32 v30, vcc, 0, v9, vcc
	v_lshrrev_b32_e32 v1, 17, v1
	global_load_dwordx4 v[21:24], v[29:30], off offset:2560
	global_load_dwordx4 v[25:28], v[6:7], off offset:16
	v_mul_lo_u16_e32 v6, 0x1b0, v1
	v_sub_u16_e32 v6, v10, v6
	v_lshlrev_b32_e32 v7, 5, v6
	v_add_co_u32_e32 v7, vcc, s8, v7
	v_addc_co_u32_e32 v9, vcc, 0, v0, vcc
	v_add_co_u32_e32 v37, vcc, s10, v7
	v_addc_co_u32_e32 v38, vcc, 0, v9, vcc
	v_add_co_u32_e32 v39, vcc, s11, v7
	v_lshrrev_b16_e32 v7, 4, v12
	v_addc_co_u32_e32 v40, vcc, 0, v9, vcc
	v_mul_u32_u24_e32 v7, 0x12f7, v7
	global_load_dwordx4 v[29:32], v[39:40], off offset:2560
	global_load_dwordx4 v[33:36], v[37:38], off offset:16
	v_lshrrev_b32_e32 v7, 17, v7
	v_mul_lo_u16_e32 v7, 0x1b0, v7
	v_sub_u16_e32 v7, v12, v7
	v_lshlrev_b32_e32 v9, 5, v7
	v_add_co_u32_e32 v9, vcc, s8, v9
	v_addc_co_u32_e32 v11, vcc, 0, v0, vcc
	v_add_co_u32_e32 v37, vcc, s11, v9
	v_addc_co_u32_e32 v38, vcc, 0, v11, vcc
	global_load_dwordx4 v[37:40], v[37:38], off offset:2560
	v_add_co_u32_e32 v41, vcc, s10, v9
	v_addc_co_u32_e32 v42, vcc, 0, v11, vcc
	global_load_dwordx4 v[41:44], v[41:42], off offset:16
	ds_read_b128 v[45:48], v70 offset:20736
	ds_read_b128 v[49:52], v70 offset:41472
	ds_read_b128 v[53:56], v70 offset:5184
	ds_read_b128 v[57:60], v70 offset:10368
	ds_read_b128 v[71:74], v70 offset:25920
	ds_read_b128 v[75:78], v70 offset:31104
	ds_read_b128 v[79:82], v70 offset:46656
	ds_read_b128 v[83:86], v70 offset:51840
	ds_read_b128 v[87:90], v70 offset:15552
	ds_read_b128 v[91:94], v70 offset:36288
	ds_read_b128 v[95:98], v70
	ds_read_b128 v[99:102], v70 offset:57024
	s_movk_i32 s10, 0x6b
	v_mov_b32_e32 v9, 0x5100
	v_cmp_lt_u32_e32 vcc, s10, v64
	v_cndmask_b32_e32 v9, 0, v9, vcc
	v_add3_u32 v5, 0, v9, v5
	s_waitcnt vmcnt(0) lgkmcnt(0)
	s_barrier
	v_mul_u32_u24_e32 v1, 0x5100, v1
	s_movk_i32 s10, 0x5000
	v_mul_f64 v[61:62], v[47:48], v[15:16]
	v_mul_f64 v[15:16], v[45:46], v[15:16]
	;; [unrolled: 1-line block ×4, first 2 shown]
	v_fma_f64 v[45:46], v[45:46], v[13:14], v[61:62]
	v_fma_f64 v[13:14], v[47:48], v[13:14], -v[15:16]
	v_fma_f64 v[19:20], v[51:52], v[17:18], -v[19:20]
	v_mul_f64 v[15:16], v[71:72], v[23:24]
	v_mul_f64 v[103:104], v[73:74], v[23:24]
	v_fma_f64 v[23:24], v[49:50], v[17:18], v[68:69]
	v_mul_f64 v[47:48], v[81:82], v[27:28]
	v_mul_f64 v[17:18], v[79:80], v[27:28]
	v_fma_f64 v[51:52], v[73:74], v[21:22], -v[15:16]
	v_fma_f64 v[27:28], v[71:72], v[21:22], v[103:104]
	v_fma_f64 v[47:48], v[79:80], v[25:26], v[47:48]
	v_mul_f64 v[49:50], v[77:78], v[31:32]
	v_mul_f64 v[15:16], v[85:86], v[35:36]
	;; [unrolled: 1-line block ×4, first 2 shown]
	v_fma_f64 v[35:36], v[81:82], v[25:26], -v[17:18]
	v_fma_f64 v[49:50], v[75:76], v[29:30], v[49:50]
	v_fma_f64 v[61:62], v[77:78], v[29:30], -v[31:32]
	v_fma_f64 v[68:69], v[85:86], v[33:34], -v[21:22]
	v_add_f64 v[29:30], v[95:96], v[45:46]
	v_add_f64 v[31:32], v[13:14], -v[19:20]
	v_mul_f64 v[17:18], v[93:94], v[39:40]
	v_mul_f64 v[25:26], v[91:92], v[39:40]
	v_fma_f64 v[39:40], v[83:84], v[33:34], v[15:16]
	v_add_f64 v[15:16], v[45:46], v[23:24]
	v_add_f64 v[33:34], v[97:98], v[13:14]
	v_mul_f64 v[21:22], v[101:102], v[43:44]
	v_fma_f64 v[71:72], v[91:92], v[37:38], v[17:18]
	v_mul_f64 v[17:18], v[99:100], v[43:44]
	v_fma_f64 v[43:44], v[93:94], v[37:38], -v[25:26]
	v_add_f64 v[25:26], v[13:14], v[19:20]
	v_fma_f64 v[15:16], v[15:16], -0.5, v[95:96]
	v_fma_f64 v[73:74], v[99:100], v[41:42], v[21:22]
	v_add_f64 v[13:14], v[29:30], v[23:24]
	v_add_f64 v[29:30], v[27:28], v[47:48]
	v_add_f64 v[23:24], v[45:46], -v[23:24]
	v_fma_f64 v[75:76], v[101:102], v[41:42], -v[17:18]
	v_add_f64 v[41:42], v[51:52], -v[35:36]
	v_fma_f64 v[25:26], v[25:26], -0.5, v[97:98]
	v_fma_f64 v[17:18], v[31:32], s[4:5], v[15:16]
	v_fma_f64 v[21:22], v[31:32], s[6:7], v[15:16]
	v_add_f64 v[15:16], v[33:34], v[19:20]
	v_add_f64 v[31:32], v[51:52], v[35:36]
	;; [unrolled: 1-line block ×5, first 2 shown]
	v_fma_f64 v[37:38], v[29:30], -0.5, v[53:54]
	v_fma_f64 v[19:20], v[23:24], s[6:7], v[25:26]
	v_fma_f64 v[23:24], v[23:24], s[4:5], v[25:26]
	v_add_f64 v[77:78], v[89:90], v[43:44]
	v_fma_f64 v[53:54], v[31:32], -0.5, v[55:56]
	v_add_f64 v[55:56], v[27:28], -v[47:48]
	v_add_f64 v[25:26], v[33:34], v[47:48]
	v_add_f64 v[47:48], v[57:58], v[49:50]
	v_fma_f64 v[45:46], v[45:46], -0.5, v[57:58]
	v_add_f64 v[57:58], v[61:62], -v[68:69]
	v_add_f64 v[27:28], v[51:52], v[35:36]
	v_add_f64 v[51:52], v[61:62], v[68:69]
	v_fma_f64 v[29:30], v[41:42], s[4:5], v[37:38]
	v_fma_f64 v[33:34], v[41:42], s[6:7], v[37:38]
	;; [unrolled: 1-line block ×4, first 2 shown]
	v_add_f64 v[37:38], v[47:48], v[39:40]
	v_add_f64 v[47:48], v[71:72], v[73:74]
	;; [unrolled: 1-line block ×4, first 2 shown]
	v_fma_f64 v[41:42], v[57:58], s[4:5], v[45:46]
	v_fma_f64 v[45:46], v[57:58], s[6:7], v[45:46]
	v_fma_f64 v[51:52], v[51:52], -0.5, v[59:60]
	v_add_f64 v[49:50], v[49:50], -v[39:40]
	v_add_f64 v[57:58], v[87:88], v[71:72]
	v_fma_f64 v[59:60], v[47:48], -0.5, v[87:88]
	v_add_f64 v[61:62], v[43:44], -v[75:76]
	v_fma_f64 v[79:80], v[53:54], -0.5, v[89:90]
	v_add_f64 v[71:72], v[71:72], -v[73:74]
	v_add_f64 v[39:40], v[55:56], v[68:69]
	ds_write_b128 v70, v[13:16]
	ds_write_b128 v70, v[17:20] offset:6912
	ds_write_b128 v70, v[21:24] offset:13824
	v_fma_f64 v[43:44], v[49:50], s[6:7], v[51:52]
	v_fma_f64 v[47:48], v[49:50], s[4:5], v[51:52]
	v_add_f64 v[49:50], v[57:58], v[73:74]
	v_add_f64 v[51:52], v[77:78], v[75:76]
	v_fma_f64 v[53:54], v[61:62], s[4:5], v[59:60]
	v_fma_f64 v[55:56], v[71:72], s[6:7], v[79:80]
	;; [unrolled: 1-line block ×4, first 2 shown]
	ds_write_b128 v5, v[25:28]
	ds_write_b128 v5, v[29:32] offset:6912
	ds_write_b128 v5, v[33:36] offset:13824
	v_lshlrev_b32_e32 v5, 4, v6
	v_add3_u32 v1, 0, v1, v5
	v_add_co_u32_e32 v13, vcc, s10, v3
	ds_write_b128 v1, v[37:40]
	ds_write_b128 v1, v[41:44] offset:6912
	ds_write_b128 v1, v[45:48] offset:13824
	v_lshl_add_u32 v1, v7, 4, 0
	v_addc_co_u32_e32 v14, vcc, 0, v4, vcc
	ds_write_b128 v1, v[49:52] offset:41472
	ds_write_b128 v1, v[53:56] offset:48384
	;; [unrolled: 1-line block ×3, first 2 shown]
	s_waitcnt lgkmcnt(0)
	s_barrier
	global_load_dwordx4 v[3:6], v[13:14], off
	s_nop 0
	global_load_dwordx4 v[13:16], v[13:14], off offset:16
	v_lshlrev_b32_e32 v1, 1, v8
	v_lshlrev_b64 v[17:18], 4, v[1:2]
	v_add_co_u32_e32 v1, vcc, s8, v17
	v_addc_co_u32_e32 v7, vcc, v0, v18, vcc
	v_add_co_u32_e32 v25, vcc, s10, v1
	v_addc_co_u32_e32 v26, vcc, 0, v7, vcc
	global_load_dwordx4 v[17:20], v[25:26], off
	global_load_dwordx4 v[21:24], v[25:26], off offset:16
	v_lshlrev_b32_e32 v1, 1, v10
	v_lshlrev_b64 v[25:26], 4, v[1:2]
	v_add_co_u32_e32 v1, vcc, s8, v25
	v_addc_co_u32_e32 v7, vcc, v0, v26, vcc
	v_add_co_u32_e32 v33, vcc, s10, v1
	v_addc_co_u32_e32 v34, vcc, 0, v7, vcc
	global_load_dwordx4 v[25:28], v[33:34], off
	;; [unrolled: 8-line block ×3, first 2 shown]
	global_load_dwordx4 v[37:40], v[0:1], off offset:16
	ds_read_b128 v[41:44], v70 offset:20736
	ds_read_b128 v[45:48], v70 offset:41472
	;; [unrolled: 1-line block ×10, first 2 shown]
	ds_read_b128 v[91:94], v70
	ds_read_b128 v[95:98], v70 offset:57024
	s_waitcnt vmcnt(0) lgkmcnt(0)
	s_barrier
	v_cmp_ne_u32_e32 vcc, 0, v64
	v_mul_f64 v[0:1], v[43:44], v[5:6]
	v_mul_f64 v[5:6], v[41:42], v[5:6]
	;; [unrolled: 1-line block ×4, first 2 shown]
	v_fma_f64 v[0:1], v[41:42], v[3:4], v[0:1]
	v_fma_f64 v[3:4], v[43:44], v[3:4], -v[5:6]
	v_fma_f64 v[15:16], v[47:48], v[13:14], -v[15:16]
	v_mul_f64 v[5:6], v[57:58], v[19:20]
	v_mul_f64 v[68:69], v[59:60], v[19:20]
	v_fma_f64 v[19:20], v[45:46], v[13:14], v[61:62]
	v_mul_f64 v[41:42], v[77:78], v[23:24]
	v_mul_f64 v[13:14], v[75:76], v[23:24]
	v_fma_f64 v[45:46], v[59:60], v[17:18], -v[5:6]
	v_fma_f64 v[23:24], v[57:58], v[17:18], v[68:69]
	v_fma_f64 v[41:42], v[75:76], v[21:22], v[41:42]
	v_mul_f64 v[43:44], v[73:74], v[27:28]
	v_mul_f64 v[27:28], v[71:72], v[27:28]
	v_mul_f64 v[5:6], v[81:82], v[31:32]
	v_mul_f64 v[17:18], v[79:80], v[31:32]
	v_fma_f64 v[31:32], v[77:78], v[21:22], -v[13:14]
	v_fma_f64 v[43:44], v[71:72], v[25:26], v[43:44]
	v_fma_f64 v[47:48], v[73:74], v[25:26], -v[27:28]
	v_add_f64 v[25:26], v[91:92], v[0:1]
	v_fma_f64 v[57:58], v[81:82], v[29:30], -v[17:18]
	v_mul_f64 v[13:14], v[89:90], v[35:36]
	v_mul_f64 v[21:22], v[87:88], v[35:36]
	v_fma_f64 v[35:36], v[79:80], v[29:30], v[5:6]
	v_add_f64 v[5:6], v[0:1], v[19:20]
	v_mul_f64 v[17:18], v[97:98], v[39:40]
	v_add_f64 v[27:28], v[3:4], -v[15:16]
	v_add_f64 v[29:30], v[93:94], v[3:4]
	v_add_f64 v[0:1], v[0:1], -v[19:20]
	v_fma_f64 v[59:60], v[87:88], v[33:34], v[13:14]
	v_mul_f64 v[13:14], v[95:96], v[39:40]
	v_fma_f64 v[39:40], v[89:90], v[33:34], -v[21:22]
	v_add_f64 v[21:22], v[3:4], v[15:16]
	v_fma_f64 v[5:6], v[5:6], -0.5, v[91:92]
	v_add_f64 v[3:4], v[25:26], v[19:20]
	v_add_f64 v[25:26], v[23:24], v[41:42]
	v_fma_f64 v[61:62], v[95:96], v[37:38], v[17:18]
	v_fma_f64 v[68:69], v[97:98], v[37:38], -v[13:14]
	v_add_f64 v[37:38], v[45:46], -v[31:32]
	v_fma_f64 v[21:22], v[21:22], -0.5, v[93:94]
	v_fma_f64 v[13:14], v[27:28], s[4:5], v[5:6]
	v_fma_f64 v[17:18], v[27:28], s[6:7], v[5:6]
	v_add_f64 v[5:6], v[29:30], v[15:16]
	v_add_f64 v[27:28], v[45:46], v[31:32]
	;; [unrolled: 1-line block ×3, first 2 shown]
	v_fma_f64 v[33:34], v[25:26], -0.5, v[49:50]
	v_add_f64 v[49:50], v[43:44], v[35:36]
	v_fma_f64 v[15:16], v[0:1], s[6:7], v[21:22]
	v_fma_f64 v[19:20], v[0:1], s[4:5], v[21:22]
	v_add_f64 v[0:1], v[51:52], v[45:46]
	v_add_f64 v[71:72], v[85:86], v[39:40]
	v_fma_f64 v[45:46], v[27:28], -0.5, v[51:52]
	v_add_f64 v[51:52], v[23:24], -v[41:42]
	v_add_f64 v[21:22], v[29:30], v[41:42]
	v_add_f64 v[41:42], v[53:54], v[43:44]
	v_fma_f64 v[49:50], v[49:50], -0.5, v[53:54]
	v_add_f64 v[53:54], v[47:48], -v[57:58]
	v_add_f64 v[23:24], v[0:1], v[31:32]
	v_add_f64 v[0:1], v[47:48], v[57:58]
	v_fma_f64 v[25:26], v[37:38], s[4:5], v[33:34]
	v_fma_f64 v[29:30], v[37:38], s[6:7], v[33:34]
	;; [unrolled: 1-line block ×4, first 2 shown]
	v_add_f64 v[33:34], v[41:42], v[35:36]
	v_add_f64 v[45:46], v[59:60], v[61:62]
	v_fma_f64 v[37:38], v[53:54], s[4:5], v[49:50]
	v_fma_f64 v[41:42], v[53:54], s[6:7], v[49:50]
	v_add_f64 v[49:50], v[39:40], v[68:69]
	v_add_f64 v[47:48], v[55:56], v[47:48]
	v_fma_f64 v[0:1], v[0:1], -0.5, v[55:56]
	v_add_f64 v[43:44], v[43:44], -v[35:36]
	v_add_f64 v[51:52], v[83:84], v[59:60]
	v_fma_f64 v[53:54], v[45:46], -0.5, v[83:84]
	v_add_f64 v[55:56], v[39:40], -v[68:69]
	v_add_f64 v[59:60], v[59:60], -v[61:62]
	v_fma_f64 v[73:74], v[49:50], -0.5, v[85:86]
	v_add_f64 v[35:36], v[47:48], v[57:58]
	v_add_f64 v[47:48], v[71:72], v[68:69]
	v_fma_f64 v[39:40], v[43:44], s[6:7], v[0:1]
	v_fma_f64 v[43:44], v[43:44], s[4:5], v[0:1]
	v_add_f64 v[45:46], v[51:52], v[61:62]
	v_fma_f64 v[49:50], v[55:56], s[4:5], v[53:54]
	v_fma_f64 v[53:54], v[55:56], s[6:7], v[53:54]
	;; [unrolled: 1-line block ×4, first 2 shown]
	ds_write_b128 v70, v[3:6]
	ds_write_b128 v70, v[13:16] offset:20736
	ds_write_b128 v70, v[17:20] offset:41472
	;; [unrolled: 1-line block ×11, first 2 shown]
	s_waitcnt lgkmcnt(0)
	s_barrier
	ds_read_b128 v[4:7], v70
	s_add_u32 s6, s8, 0xf200
	v_lshlrev_b32_e32 v0, 4, v64
	s_addc_u32 s7, s9, 0
	v_sub_u32_e32 v17, 0, v0
                                        ; implicit-def: $vgpr0_vgpr1
                                        ; implicit-def: $vgpr13_vgpr14
                                        ; implicit-def: $vgpr15_vgpr16
	s_and_saveexec_b64 s[4:5], vcc
	s_xor_b64 s[4:5], exec, s[4:5]
	s_cbranch_execz .LBB0_15
; %bb.14:
	v_mov_b32_e32 v65, v2
	v_lshlrev_b64 v[0:1], 4, v[64:65]
	v_mov_b32_e32 v2, s7
	v_add_co_u32_e32 v0, vcc, s6, v0
	v_addc_co_u32_e32 v1, vcc, v2, v1, vcc
	global_load_dwordx4 v[18:21], v[0:1], off
	ds_read_b128 v[0:3], v17 offset:62208
	s_waitcnt lgkmcnt(0)
	v_add_f64 v[13:14], v[4:5], -v[0:1]
	v_add_f64 v[15:16], v[6:7], v[2:3]
	v_add_f64 v[2:3], v[6:7], -v[2:3]
	v_add_f64 v[0:1], v[4:5], v[0:1]
	v_mul_f64 v[6:7], v[13:14], 0.5
	v_mul_f64 v[4:5], v[15:16], 0.5
	v_mul_f64 v[2:3], v[2:3], 0.5
	s_waitcnt vmcnt(0)
	v_mul_f64 v[13:14], v[6:7], v[20:21]
	v_fma_f64 v[15:16], v[4:5], v[20:21], v[2:3]
	v_fma_f64 v[2:3], v[4:5], v[20:21], -v[2:3]
	v_fma_f64 v[22:23], v[0:1], 0.5, v[13:14]
	v_fma_f64 v[0:1], v[0:1], 0.5, -v[13:14]
	v_fma_f64 v[15:16], -v[18:19], v[6:7], v[15:16]
	v_fma_f64 v[2:3], -v[18:19], v[6:7], v[2:3]
	v_fma_f64 v[13:14], v[4:5], v[18:19], v[22:23]
	v_fma_f64 v[0:1], -v[4:5], v[18:19], v[0:1]
                                        ; implicit-def: $vgpr4_vgpr5
.LBB0_15:
	s_andn2_saveexec_b64 s[4:5], s[4:5]
	s_cbranch_execz .LBB0_17
; %bb.16:
	s_waitcnt lgkmcnt(0)
	v_add_f64 v[13:14], v[4:5], v[6:7]
	v_add_f64 v[0:1], v[4:5], -v[6:7]
	v_mov_b32_e32 v4, 0
	ds_read_b64 v[2:3], v4 offset:31112
	v_mov_b32_e32 v15, 0
	v_mov_b32_e32 v16, 0
	s_waitcnt lgkmcnt(0)
	v_xor_b32_e32 v3, 0x80000000, v3
	ds_write_b64 v4, v[2:3] offset:31112
	v_mov_b32_e32 v2, v15
	v_mov_b32_e32 v3, v16
.LBB0_17:
	s_or_b64 exec, exec, s[4:5]
	v_mov_b32_e32 v9, 0
	s_waitcnt lgkmcnt(0)
	v_lshlrev_b64 v[4:5], 4, v[8:9]
	v_mov_b32_e32 v6, s7
	v_add_co_u32_e32 v4, vcc, s6, v4
	v_addc_co_u32_e32 v5, vcc, v6, v5, vcc
	global_load_dwordx4 v[4:7], v[4:5], off
	v_mov_b32_e32 v11, v9
	v_lshlrev_b64 v[10:11], 4, v[10:11]
	v_mov_b32_e32 v8, s7
	v_add_co_u32_e32 v10, vcc, s6, v10
	v_addc_co_u32_e32 v11, vcc, v8, v11, vcc
	global_load_dwordx4 v[18:21], v[10:11], off
	ds_write2_b64 v70, v[13:14], v[15:16] offset1:1
	ds_write_b128 v17, v[0:3] offset:62208
	ds_read_b128 v[0:3], v70 offset:5184
	ds_read_b128 v[13:16], v17 offset:57024
	s_waitcnt lgkmcnt(0)
	v_add_f64 v[10:11], v[0:1], -v[13:14]
	v_add_f64 v[22:23], v[2:3], v[15:16]
	v_add_f64 v[2:3], v[2:3], -v[15:16]
	v_add_f64 v[0:1], v[0:1], v[13:14]
	v_mov_b32_e32 v13, v9
	v_lshlrev_b64 v[12:13], 4, v[12:13]
	v_mul_f64 v[10:11], v[10:11], 0.5
	v_mul_f64 v[15:16], v[22:23], 0.5
	;; [unrolled: 1-line block ×3, first 2 shown]
	s_waitcnt vmcnt(1)
	v_mul_f64 v[22:23], v[10:11], v[6:7]
	v_fma_f64 v[24:25], v[15:16], v[6:7], v[2:3]
	v_fma_f64 v[6:7], v[15:16], v[6:7], -v[2:3]
	v_fma_f64 v[26:27], v[0:1], 0.5, v[22:23]
	v_fma_f64 v[22:23], v[0:1], 0.5, -v[22:23]
	v_add_co_u32_e32 v0, vcc, s6, v12
	v_addc_co_u32_e32 v1, vcc, v8, v13, vcc
	global_load_dwordx4 v[0:3], v[0:1], off
	v_fma_f64 v[12:13], -v[4:5], v[10:11], v[24:25]
	v_fma_f64 v[6:7], -v[4:5], v[10:11], v[6:7]
	v_fma_f64 v[10:11], v[15:16], v[4:5], v[26:27]
	v_fma_f64 v[4:5], -v[15:16], v[4:5], v[22:23]
	v_add_u32_e32 v8, 0x1000, v70
	v_mov_b32_e32 v16, s7
	ds_write2_b64 v8, v[10:11], v[12:13] offset0:136 offset1:137
	ds_write_b128 v17, v[4:7] offset:57024
	ds_read_b128 v[4:7], v70 offset:10368
	ds_read_b128 v[10:13], v17 offset:51840
	v_add_u32_e32 v8, 0x510, v64
	s_waitcnt lgkmcnt(0)
	v_add_f64 v[14:15], v[4:5], -v[10:11]
	v_add_f64 v[22:23], v[6:7], v[12:13]
	v_add_f64 v[6:7], v[6:7], -v[12:13]
	v_add_f64 v[4:5], v[4:5], v[10:11]
	v_mul_f64 v[12:13], v[14:15], 0.5
	v_mul_f64 v[14:15], v[22:23], 0.5
	v_mul_f64 v[6:7], v[6:7], 0.5
	v_lshlrev_b64 v[22:23], 4, v[8:9]
	v_add_u32_e32 v8, 0x2800, v70
	s_waitcnt vmcnt(1)
	v_mul_f64 v[10:11], v[12:13], v[20:21]
	v_fma_f64 v[24:25], v[14:15], v[20:21], v[6:7]
	v_fma_f64 v[20:21], v[14:15], v[20:21], -v[6:7]
	v_fma_f64 v[26:27], v[4:5], 0.5, v[10:11]
	v_fma_f64 v[10:11], v[4:5], 0.5, -v[10:11]
	v_add_co_u32_e32 v4, vcc, s6, v22
	v_addc_co_u32_e32 v5, vcc, v16, v23, vcc
	global_load_dwordx4 v[4:7], v[4:5], off
	v_fma_f64 v[22:23], -v[18:19], v[12:13], v[24:25]
	v_fma_f64 v[12:13], -v[18:19], v[12:13], v[20:21]
	v_fma_f64 v[20:21], v[14:15], v[18:19], v[26:27]
	v_fma_f64 v[10:11], -v[14:15], v[18:19], v[10:11]
	ds_write2_b64 v8, v[20:21], v[22:23] offset0:16 offset1:17
	ds_write_b128 v17, v[10:13] offset:51840
	ds_read_b128 v[10:13], v70 offset:15552
	ds_read_b128 v[18:21], v17 offset:46656
	v_add_u32_e32 v8, 0x654, v64
	s_waitcnt lgkmcnt(0)
	v_add_f64 v[14:15], v[10:11], -v[18:19]
	v_add_f64 v[22:23], v[12:13], v[20:21]
	v_add_f64 v[12:13], v[12:13], -v[20:21]
	v_add_f64 v[10:11], v[10:11], v[18:19]
	v_mul_f64 v[14:15], v[14:15], 0.5
	v_mul_f64 v[20:21], v[22:23], 0.5
	;; [unrolled: 1-line block ×3, first 2 shown]
	v_lshlrev_b64 v[22:23], 4, v[8:9]
	v_add_u32_e32 v8, 0x3800, v70
	s_waitcnt vmcnt(1)
	v_mul_f64 v[18:19], v[14:15], v[2:3]
	v_fma_f64 v[24:25], v[20:21], v[2:3], v[12:13]
	v_fma_f64 v[2:3], v[20:21], v[2:3], -v[12:13]
	v_fma_f64 v[26:27], v[10:11], 0.5, v[18:19]
	v_fma_f64 v[18:19], v[10:11], 0.5, -v[18:19]
	v_add_co_u32_e32 v10, vcc, s6, v22
	v_addc_co_u32_e32 v11, vcc, v16, v23, vcc
	global_load_dwordx4 v[10:13], v[10:11], off
	v_fma_f64 v[22:23], -v[0:1], v[14:15], v[24:25]
	v_fma_f64 v[2:3], -v[0:1], v[14:15], v[2:3]
	v_fma_f64 v[14:15], v[20:21], v[0:1], v[26:27]
	v_fma_f64 v[0:1], -v[20:21], v[0:1], v[18:19]
	ds_write2_b64 v8, v[14:15], v[22:23] offset0:152 offset1:153
	ds_write_b128 v17, v[0:3] offset:46656
	ds_read_b128 v[0:3], v70 offset:20736
	ds_read_b128 v[18:21], v17 offset:41472
	v_add_u32_e32 v8, 0x6000, v70
	s_waitcnt lgkmcnt(0)
	v_add_f64 v[14:15], v[0:1], -v[18:19]
	v_add_f64 v[22:23], v[2:3], v[20:21]
	v_add_f64 v[2:3], v[2:3], -v[20:21]
	v_add_f64 v[0:1], v[0:1], v[18:19]
	v_mul_f64 v[14:15], v[14:15], 0.5
	v_mul_f64 v[20:21], v[22:23], 0.5
	;; [unrolled: 1-line block ×3, first 2 shown]
	s_waitcnt vmcnt(1)
	v_mul_f64 v[18:19], v[14:15], v[6:7]
	v_fma_f64 v[22:23], v[20:21], v[6:7], v[2:3]
	v_fma_f64 v[2:3], v[20:21], v[6:7], -v[2:3]
	v_fma_f64 v[6:7], v[0:1], 0.5, v[18:19]
	v_fma_f64 v[0:1], v[0:1], 0.5, -v[18:19]
	v_fma_f64 v[18:19], -v[4:5], v[14:15], v[22:23]
	v_fma_f64 v[2:3], -v[4:5], v[14:15], v[2:3]
	v_fma_f64 v[6:7], v[20:21], v[4:5], v[6:7]
	v_fma_f64 v[0:1], -v[20:21], v[4:5], v[0:1]
	v_add_u32_e32 v4, 0x5000, v70
	ds_write2_b64 v4, v[6:7], v[18:19] offset0:32 offset1:33
	ds_write_b128 v17, v[0:3] offset:41472
	ds_read_b128 v[0:3], v70 offset:25920
	ds_read_b128 v[4:7], v17 offset:36288
	s_waitcnt lgkmcnt(0)
	v_add_f64 v[14:15], v[0:1], -v[4:5]
	v_add_f64 v[18:19], v[2:3], v[6:7]
	v_add_f64 v[2:3], v[2:3], -v[6:7]
	v_add_f64 v[0:1], v[0:1], v[4:5]
	v_mul_f64 v[6:7], v[14:15], 0.5
	v_mul_f64 v[14:15], v[18:19], 0.5
	;; [unrolled: 1-line block ×3, first 2 shown]
	s_waitcnt vmcnt(0)
	v_mul_f64 v[4:5], v[6:7], v[12:13]
	v_fma_f64 v[18:19], v[14:15], v[12:13], v[2:3]
	v_fma_f64 v[2:3], v[14:15], v[12:13], -v[2:3]
	v_fma_f64 v[12:13], v[0:1], 0.5, v[4:5]
	v_fma_f64 v[0:1], v[0:1], 0.5, -v[4:5]
	v_fma_f64 v[4:5], -v[10:11], v[6:7], v[18:19]
	v_fma_f64 v[2:3], -v[10:11], v[6:7], v[2:3]
	v_fma_f64 v[6:7], v[14:15], v[10:11], v[12:13]
	v_fma_f64 v[0:1], -v[14:15], v[10:11], v[0:1]
	ds_write2_b64 v8, v[6:7], v[4:5] offset0:168 offset1:169
	ds_write_b128 v17, v[0:3] offset:36288
	s_waitcnt lgkmcnt(0)
	s_barrier
	s_and_saveexec_b64 s[4:5], s[0:1]
	s_cbranch_execz .LBB0_20
; %bb.18:
	v_mov_b32_e32 v65, v9
	ds_read_b128 v[2:5], v70
	v_mov_b32_e32 v0, s3
	v_add_co_u32_e32 v1, vcc, s2, v66
	v_lshlrev_b64 v[6:7], 4, v[64:65]
	v_addc_co_u32_e32 v0, vcc, v0, v67, vcc
	v_add_co_u32_e32 v14, vcc, v1, v6
	v_addc_co_u32_e32 v15, vcc, v0, v7, vcc
	ds_read_b128 v[6:9], v70 offset:57024
	s_waitcnt lgkmcnt(1)
	global_store_dwordx4 v[14:15], v[2:5], off
	ds_read_b128 v[2:5], v70 offset:5184
	ds_read_b128 v[10:13], v70 offset:10368
	v_add_co_u32_e32 v16, vcc, 0x1000, v14
	v_addc_co_u32_e32 v17, vcc, 0, v15, vcc
	s_waitcnt lgkmcnt(1)
	global_store_dwordx4 v[16:17], v[2:5], off offset:1088
	s_movk_i32 s0, 0x143
	v_add_co_u32_e32 v2, vcc, 0x2000, v14
	v_addc_co_u32_e32 v3, vcc, 0, v15, vcc
	s_waitcnt lgkmcnt(0)
	global_store_dwordx4 v[2:3], v[10:13], off offset:2176
	ds_read_b128 v[2:5], v70 offset:15552
	ds_read_b128 v[10:13], v70 offset:20736
	v_add_co_u32_e32 v16, vcc, 0x3000, v14
	v_addc_co_u32_e32 v17, vcc, 0, v15, vcc
	s_waitcnt lgkmcnt(1)
	global_store_dwordx4 v[16:17], v[2:5], off offset:3264
	s_nop 0
	v_add_co_u32_e32 v2, vcc, 0x5000, v14
	v_addc_co_u32_e32 v3, vcc, 0, v15, vcc
	s_waitcnt lgkmcnt(0)
	global_store_dwordx4 v[2:3], v[10:13], off offset:256
	ds_read_b128 v[2:5], v70 offset:25920
	ds_read_b128 v[10:13], v70 offset:31104
	v_add_co_u32_e32 v16, vcc, 0x6000, v14
	v_addc_co_u32_e32 v17, vcc, 0, v15, vcc
	s_waitcnt lgkmcnt(1)
	global_store_dwordx4 v[16:17], v[2:5], off offset:1344
	s_nop 0
	;; [unrolled: 11-line block ×4, first 2 shown]
	v_add_co_u32_e32 v2, vcc, 0xc000, v14
	v_addc_co_u32_e32 v3, vcc, 0, v15, vcc
	s_waitcnt lgkmcnt(0)
	global_store_dwordx4 v[2:3], v[10:13], off offset:2688
	v_add_co_u32_e32 v2, vcc, 0xd000, v14
	v_addc_co_u32_e32 v3, vcc, 0, v15, vcc
	v_cmp_eq_u32_e32 vcc, s0, v64
	global_store_dwordx4 v[2:3], v[6:9], off offset:3776
	s_and_b64 exec, exec, vcc
	s_cbranch_execz .LBB0_20
; %bb.19:
	v_mov_b32_e32 v2, 0
	ds_read_b128 v[2:5], v2 offset:62208
	v_add_co_u32_e32 v6, vcc, 0xf000, v1
	v_addc_co_u32_e32 v7, vcc, 0, v0, vcc
	s_waitcnt lgkmcnt(0)
	global_store_dwordx4 v[6:7], v[2:5], off offset:768
.LBB0_20:
	s_endpgm
	.section	.rodata,"a",@progbits
	.p2align	6, 0x0
	.amdhsa_kernel fft_rtc_back_len3888_factors_16_3_3_3_3_3_wgs_324_tpt_324_halfLds_dp_ip_CI_unitstride_sbrr_R2C_dirReg
		.amdhsa_group_segment_fixed_size 0
		.amdhsa_private_segment_fixed_size 0
		.amdhsa_kernarg_size 88
		.amdhsa_user_sgpr_count 6
		.amdhsa_user_sgpr_private_segment_buffer 1
		.amdhsa_user_sgpr_dispatch_ptr 0
		.amdhsa_user_sgpr_queue_ptr 0
		.amdhsa_user_sgpr_kernarg_segment_ptr 1
		.amdhsa_user_sgpr_dispatch_id 0
		.amdhsa_user_sgpr_flat_scratch_init 0
		.amdhsa_user_sgpr_private_segment_size 0
		.amdhsa_uses_dynamic_stack 0
		.amdhsa_system_sgpr_private_segment_wavefront_offset 0
		.amdhsa_system_sgpr_workgroup_id_x 1
		.amdhsa_system_sgpr_workgroup_id_y 0
		.amdhsa_system_sgpr_workgroup_id_z 0
		.amdhsa_system_sgpr_workgroup_info 0
		.amdhsa_system_vgpr_workitem_id 0
		.amdhsa_next_free_vgpr 111
		.amdhsa_next_free_sgpr 22
		.amdhsa_reserve_vcc 1
		.amdhsa_reserve_flat_scratch 0
		.amdhsa_float_round_mode_32 0
		.amdhsa_float_round_mode_16_64 0
		.amdhsa_float_denorm_mode_32 3
		.amdhsa_float_denorm_mode_16_64 3
		.amdhsa_dx10_clamp 1
		.amdhsa_ieee_mode 1
		.amdhsa_fp16_overflow 0
		.amdhsa_exception_fp_ieee_invalid_op 0
		.amdhsa_exception_fp_denorm_src 0
		.amdhsa_exception_fp_ieee_div_zero 0
		.amdhsa_exception_fp_ieee_overflow 0
		.amdhsa_exception_fp_ieee_underflow 0
		.amdhsa_exception_fp_ieee_inexact 0
		.amdhsa_exception_int_div_zero 0
	.end_amdhsa_kernel
	.text
.Lfunc_end0:
	.size	fft_rtc_back_len3888_factors_16_3_3_3_3_3_wgs_324_tpt_324_halfLds_dp_ip_CI_unitstride_sbrr_R2C_dirReg, .Lfunc_end0-fft_rtc_back_len3888_factors_16_3_3_3_3_3_wgs_324_tpt_324_halfLds_dp_ip_CI_unitstride_sbrr_R2C_dirReg
                                        ; -- End function
	.section	.AMDGPU.csdata,"",@progbits
; Kernel info:
; codeLenInByte = 10792
; NumSgprs: 26
; NumVgprs: 111
; ScratchSize: 0
; MemoryBound: 0
; FloatMode: 240
; IeeeMode: 1
; LDSByteSize: 0 bytes/workgroup (compile time only)
; SGPRBlocks: 3
; VGPRBlocks: 27
; NumSGPRsForWavesPerEU: 26
; NumVGPRsForWavesPerEU: 111
; Occupancy: 2
; WaveLimiterHint : 1
; COMPUTE_PGM_RSRC2:SCRATCH_EN: 0
; COMPUTE_PGM_RSRC2:USER_SGPR: 6
; COMPUTE_PGM_RSRC2:TRAP_HANDLER: 0
; COMPUTE_PGM_RSRC2:TGID_X_EN: 1
; COMPUTE_PGM_RSRC2:TGID_Y_EN: 0
; COMPUTE_PGM_RSRC2:TGID_Z_EN: 0
; COMPUTE_PGM_RSRC2:TIDIG_COMP_CNT: 0
	.type	__hip_cuid_995c06f1be391b1f,@object ; @__hip_cuid_995c06f1be391b1f
	.section	.bss,"aw",@nobits
	.globl	__hip_cuid_995c06f1be391b1f
__hip_cuid_995c06f1be391b1f:
	.byte	0                               ; 0x0
	.size	__hip_cuid_995c06f1be391b1f, 1

	.ident	"AMD clang version 19.0.0git (https://github.com/RadeonOpenCompute/llvm-project roc-6.4.0 25133 c7fe45cf4b819c5991fe208aaa96edf142730f1d)"
	.section	".note.GNU-stack","",@progbits
	.addrsig
	.addrsig_sym __hip_cuid_995c06f1be391b1f
	.amdgpu_metadata
---
amdhsa.kernels:
  - .args:
      - .actual_access:  read_only
        .address_space:  global
        .offset:         0
        .size:           8
        .value_kind:     global_buffer
      - .offset:         8
        .size:           8
        .value_kind:     by_value
      - .actual_access:  read_only
        .address_space:  global
        .offset:         16
        .size:           8
        .value_kind:     global_buffer
      - .actual_access:  read_only
        .address_space:  global
        .offset:         24
        .size:           8
        .value_kind:     global_buffer
      - .offset:         32
        .size:           8
        .value_kind:     by_value
      - .actual_access:  read_only
        .address_space:  global
        .offset:         40
        .size:           8
        .value_kind:     global_buffer
      - .actual_access:  read_only
        .address_space:  global
        .offset:         48
        .size:           8
        .value_kind:     global_buffer
      - .offset:         56
        .size:           4
        .value_kind:     by_value
      - .actual_access:  read_only
        .address_space:  global
        .offset:         64
        .size:           8
        .value_kind:     global_buffer
      - .actual_access:  read_only
        .address_space:  global
        .offset:         72
        .size:           8
        .value_kind:     global_buffer
      - .address_space:  global
        .offset:         80
        .size:           8
        .value_kind:     global_buffer
    .group_segment_fixed_size: 0
    .kernarg_segment_align: 8
    .kernarg_segment_size: 88
    .language:       OpenCL C
    .language_version:
      - 2
      - 0
    .max_flat_workgroup_size: 324
    .name:           fft_rtc_back_len3888_factors_16_3_3_3_3_3_wgs_324_tpt_324_halfLds_dp_ip_CI_unitstride_sbrr_R2C_dirReg
    .private_segment_fixed_size: 0
    .sgpr_count:     26
    .sgpr_spill_count: 0
    .symbol:         fft_rtc_back_len3888_factors_16_3_3_3_3_3_wgs_324_tpt_324_halfLds_dp_ip_CI_unitstride_sbrr_R2C_dirReg.kd
    .uniform_work_group_size: 1
    .uses_dynamic_stack: false
    .vgpr_count:     111
    .vgpr_spill_count: 0
    .wavefront_size: 64
amdhsa.target:   amdgcn-amd-amdhsa--gfx906
amdhsa.version:
  - 1
  - 2
...

	.end_amdgpu_metadata
